;; amdgpu-corpus repo=ROCm/bitsandbytes kind=harvested arch=n/a opt=n/a
	.text
	.amdgcn_target "amdgcn-amd-amdhsa--gfx1100"
	.amdhsa_code_object_version 6
	.protected	_Z27kspmm_coo_very_sparse_naiveI6__halfLi32ELi16EEvPiS1_S1_S1_S1_PS0_PT_S2_Pfiiii ; -- Begin function _Z27kspmm_coo_very_sparse_naiveI6__halfLi32ELi16EEvPiS1_S1_S1_S1_PS0_PT_S2_Pfiiii
	.globl	_Z27kspmm_coo_very_sparse_naiveI6__halfLi32ELi16EEvPiS1_S1_S1_S1_PS0_PT_S2_Pfiiii
	.p2align	8
	.type	_Z27kspmm_coo_very_sparse_naiveI6__halfLi32ELi16EEvPiS1_S1_S1_S1_PS0_PT_S2_Pfiiii,@function
_Z27kspmm_coo_very_sparse_naiveI6__halfLi32ELi16EEvPiS1_S1_S1_S1_PS0_PT_S2_Pfiiii: ; @_Z27kspmm_coo_very_sparse_naiveI6__halfLi32ELi16EEvPiS1_S1_S1_S1_PS0_PT_S2_Pfiiii
; %bb.0:
	s_load_b512 s[36:51], s[0:1], 0x0
	s_mov_b32 s6, s15
	s_mov_b32 s7, 0
	s_delay_alu instid0(SALU_CYCLE_1)
	s_lshl_b64 s[2:3], s[6:7], 2
	s_waitcnt lgkmcnt(0)
	s_add_u32 s8, s36, s2
	s_addc_u32 s9, s37, s3
	s_add_u32 s2, s38, s2
	s_addc_u32 s3, s39, s3
	s_load_b32 s4, s[2:3], 0x0
	s_load_b32 s61, s[8:9], 0x0
	s_mov_b32 s2, 0
	s_waitcnt lgkmcnt(0)
	s_cmp_eq_u32 s4, 0
	s_cbranch_scc1 .LBB33_2
; %bb.1:
	s_ashr_i32 s5, s4, 31
	s_delay_alu instid0(SALU_CYCLE_1) | instskip(NEXT) | instid1(SALU_CYCLE_1)
	s_lshl_b64 s[2:3], s[4:5], 2
	s_add_u32 s2, s40, s2
	s_addc_u32 s3, s41, s3
	s_add_u32 s2, s2, -4
	s_addc_u32 s3, s3, -1
	s_load_b32 s2, s[2:3], 0x0
.LBB33_2:
	s_waitcnt lgkmcnt(0)
	s_ashr_i32 s3, s2, 31
	v_dual_mov_b32 v1, 0 :: v_dual_mov_b32 v2, 0
	s_lshl_b64 s[4:5], s[2:3], 2
	s_delay_alu instid0(SALU_CYCLE_1)
	s_add_u32 s8, s42, s4
	s_addc_u32 s9, s43, s5
	s_cmp_lt_i32 s61, 1
	s_cselect_b32 s38, -1, 0
	s_cmp_gt_i32 s61, 0
	s_cbranch_scc0 .LBB33_4
; %bb.3:
	s_lshl_b64 s[6:7], s[2:3], 1
	v_mov_b32_e32 v2, 0
	s_add_u32 s6, s46, s6
	s_addc_u32 s7, s47, s7
	global_load_u16 v2, v2, s[6:7]
	s_add_u32 s6, s44, s4
	s_addc_u32 s7, s45, s5
	s_load_b32 s7, s[6:7], 0x0
.LBB33_4:
	s_load_b32 s6, s[8:9], 0x0
	s_waitcnt lgkmcnt(0)
	v_mov_b32_e32 v3, s7
	s_mov_b32 s7, 0
	s_cmp_lt_i32 s61, 2
	s_mov_b32 s8, 0
	s_waitcnt vmcnt(0)
	s_clause 0x1
	scratch_store_b16 off, v2, off
	scratch_store_b32 off, v3, off offset:64
	s_cbranch_scc1 .LBB33_6
; %bb.5:
	s_lshl_b64 s[8:9], s[2:3], 1
	v_mov_b32_e32 v1, 0
	s_add_u32 s8, s46, s8
	s_addc_u32 s9, s47, s9
	global_load_u16 v1, v1, s[8:9] offset:2
	s_add_u32 s8, s44, s4
	s_addc_u32 s9, s45, s5
	s_load_b32 s8, s[8:9], 0x4
.LBB33_6:
	s_waitcnt lgkmcnt(0)
	v_dual_mov_b32 v4, s8 :: v_dual_mov_b32 v3, 0
	v_mov_b32_e32 v2, 0
	s_cmp_lt_i32 s61, 3
	s_waitcnt vmcnt(0)
	s_clause 0x1
	scratch_store_b16 off, v1, off offset:2
	scratch_store_b32 off, v4, off offset:68
	s_cbranch_scc1 .LBB33_8
; %bb.7:
	s_lshl_b64 s[8:9], s[2:3], 1
	v_mov_b32_e32 v1, 0
	s_add_u32 s8, s46, s8
	s_addc_u32 s9, s47, s9
	global_load_u16 v3, v1, s[8:9] offset:4
	s_add_u32 s8, s44, s4
	s_addc_u32 s9, s45, s5
	s_load_b32 s7, s[8:9], 0x8
.LBB33_8:
	s_waitcnt lgkmcnt(0)
	v_mov_b32_e32 v1, s7
	s_mov_b32 s7, 0
	s_cmp_lt_i32 s61, 4
	s_mov_b32 s8, 0
	s_waitcnt vmcnt(0)
	s_clause 0x1
	scratch_store_b16 off, v3, off offset:4
	scratch_store_b32 off, v1, off offset:72
	s_cbranch_scc1 .LBB33_10
; %bb.9:
	s_lshl_b64 s[8:9], s[2:3], 1
	v_mov_b32_e32 v1, 0
	s_add_u32 s8, s46, s8
	s_addc_u32 s9, s47, s9
	global_load_u16 v2, v1, s[8:9] offset:6
	s_add_u32 s8, s44, s4
	s_addc_u32 s9, s45, s5
	s_load_b32 s8, s[8:9], 0xc
.LBB33_10:
	s_waitcnt lgkmcnt(0)
	v_dual_mov_b32 v4, s8 :: v_dual_mov_b32 v1, 0
	v_mov_b32_e32 v3, 0
	s_cmp_lt_i32 s61, 5
	s_waitcnt vmcnt(0)
	s_clause 0x1
	scratch_store_b16 off, v2, off offset:6
	scratch_store_b32 off, v4, off offset:76
	s_cbranch_scc1 .LBB33_12
; %bb.11:
	s_lshl_b64 s[8:9], s[2:3], 1
	v_mov_b32_e32 v2, 0
	s_add_u32 s8, s46, s8
	s_addc_u32 s9, s47, s9
	global_load_u16 v3, v2, s[8:9] offset:8
	s_add_u32 s8, s44, s4
	s_addc_u32 s9, s45, s5
	s_load_b32 s7, s[8:9], 0x10
.LBB33_12:
	s_waitcnt lgkmcnt(0)
	v_mov_b32_e32 v2, s7
	s_mov_b32 s7, 0
	s_cmp_lt_i32 s61, 6
	s_mov_b32 s8, 0
	s_waitcnt vmcnt(0)
	s_clause 0x1
	scratch_store_b16 off, v3, off offset:8
	;; [unrolled: 39-line block ×14, first 2 shown]
	scratch_store_b32 off, v2, off offset:176
	s_cbranch_scc1 .LBB33_62
; %bb.61:
	s_lshl_b64 s[8:9], s[2:3], 1
	v_mov_b32_e32 v1, 0
	s_add_u32 s8, s46, s8
	s_addc_u32 s9, s47, s9
	global_load_u16 v3, v1, s[8:9] offset:58
	s_add_u32 s8, s44, s4
	s_addc_u32 s9, s45, s5
	s_load_b32 s8, s[8:9], 0x74
.LBB33_62:
	s_waitcnt lgkmcnt(0)
	v_dual_mov_b32 v4, s8 :: v_dual_mov_b32 v1, 0
	v_mov_b32_e32 v2, 0
	s_cmp_lt_i32 s61, 31
	s_waitcnt vmcnt(0)
	s_clause 0x1
	scratch_store_b16 off, v3, off offset:58
	scratch_store_b32 off, v4, off offset:180
	s_cbranch_scc1 .LBB33_64
; %bb.63:
	s_lshl_b64 s[8:9], s[2:3], 1
	v_mov_b32_e32 v2, 0
	s_add_u32 s8, s46, s8
	s_addc_u32 s9, s47, s9
	global_load_u16 v2, v2, s[8:9] offset:60
	s_add_u32 s8, s44, s4
	s_addc_u32 s9, s45, s5
	s_load_b32 s7, s[8:9], 0x78
.LBB33_64:
	s_waitcnt lgkmcnt(0)
	v_mov_b32_e32 v3, s7
	s_cmp_lt_i32 s61, 32
	s_mov_b32 s7, 0
	s_waitcnt vmcnt(0)
	s_clause 0x1
	scratch_store_b16 off, v2, off offset:60
	scratch_store_b32 off, v3, off offset:184
	s_cbranch_scc1 .LBB33_66
; %bb.65:
	s_lshl_b64 s[2:3], s[2:3], 1
	v_mov_b32_e32 v1, 0
	s_add_u32 s2, s46, s2
	s_addc_u32 s3, s47, s3
	global_load_u16 v1, v1, s[2:3] offset:62
	s_add_u32 s2, s44, s4
	s_addc_u32 s3, s45, s5
	s_load_b32 s7, s[2:3], 0x7c
.LBB33_66:
	s_load_b32 s39, s[0:1], 0x54
	s_waitcnt lgkmcnt(0)
	v_dual_mov_b32 v3, s7 :: v_dual_lshlrev_b32 v2, 5, v0
	s_mov_b32 s2, exec_lo
	s_waitcnt vmcnt(0)
	s_clause 0x1
	scratch_store_b16 off, v1, off offset:62
	scratch_store_b32 off, v3, off offset:188
	v_and_b32_e32 v23, 0x7c00, v2
	s_delay_alu instid0(VALU_DEP_1)
	v_cmpx_gt_i32_e64 s39, v23
	s_cbranch_execz .LBB33_249
; %bb.67:
	s_clause 0x1
	s_load_b64 s[2:3], s[0:1], 0x40
	s_load_b32 s0, s[0:1], 0x64
                                        ; implicit-def: $vgpr86 : SGPR spill to VGPR lane
	s_mul_i32 s40, s6, s39
                                        ; implicit-def: $vgpr85 : SGPR spill to VGPR lane
                                        ; implicit-def: $vgpr84 : SGPR spill to VGPR lane
	v_add_lshl_u32 v1, v0, v23, 2
	v_and_b32_e32 v24, 0x3e0, v2
	v_dual_mov_b32 v26, v23 :: v_dual_lshlrev_b32 v25, 1, v0
	s_mov_b32 s41, 0
	s_waitcnt lgkmcnt(0)
	s_cmp_lg_u64 s[2:3], 0
	v_add_co_u32 v17, s1, s2, v1
	s_cselect_b32 s42, -1, 0
	s_and_b32 s43, s0, 0xffff
	v_add_co_ci_u32_e64 v18, null, s3, 0, s1
	s_lshl_b32 s44, s43, 5
	s_add_u32 s0, s50, 2
	s_delay_alu instid0(SALU_CYCLE_1) | instskip(SKIP_1) | instid1(SALU_CYCLE_1)
	v_writelane_b32 v86, s0, 0
	s_addc_u32 s0, s51, 0
	v_writelane_b32 v86, s0, 1
	s_add_u32 s0, s50, 4
	s_delay_alu instid0(SALU_CYCLE_1) | instskip(SKIP_1) | instid1(SALU_CYCLE_1)
	v_writelane_b32 v86, s0, 2
	s_addc_u32 s0, s51, 0
	v_writelane_b32 v86, s0, 3
	;; [unrolled: 5-line block ×6, first 2 shown]
	s_add_u32 s0, s50, 14
	s_delay_alu instid0(SALU_CYCLE_1)
	v_writelane_b32 v86, s0, 12
	s_addc_u32 s0, s51, 0
	s_add_u32 s63, s48, 16
	s_addc_u32 s64, s49, 0
	s_add_u32 s65, s48, 18
	;; [unrolled: 2-line block ×16, first 2 shown]
	v_writelane_b32 v86, s0, 13
	s_addc_u32 s94, s49, 0
	s_add_u32 s95, s48, 48
	s_addc_u32 s96, s49, 0
	s_add_u32 s0, s48, 50
	s_delay_alu instid0(SALU_CYCLE_1) | instskip(SKIP_1) | instid1(SALU_CYCLE_1)
	v_writelane_b32 v86, s0, 14
	s_addc_u32 s0, s49, 0
	v_writelane_b32 v86, s0, 15
	s_add_u32 s0, s48, 52
	s_delay_alu instid0(SALU_CYCLE_1) | instskip(SKIP_1) | instid1(SALU_CYCLE_1)
	v_writelane_b32 v86, s0, 16
	s_addc_u32 s0, s49, 0
	v_writelane_b32 v86, s0, 17
	;; [unrolled: 5-line block ×6, first 2 shown]
	s_add_u32 s0, s48, 62
	s_delay_alu instid0(SALU_CYCLE_1) | instskip(SKIP_4) | instid1(SALU_CYCLE_1)
	v_writelane_b32 v86, s0, 26
	s_addc_u32 s0, s49, 0
	s_ashr_i32 s54, s40, 31
	v_writelane_b32 v86, s0, 27
	s_add_u32 s0, s50, 16
	v_writelane_b32 v86, s0, 28
	s_addc_u32 s0, s51, 0
	s_delay_alu instid0(SALU_CYCLE_1) | instskip(SKIP_1) | instid1(SALU_CYCLE_1)
	v_writelane_b32 v86, s0, 29
	s_add_u32 s0, s50, 18
	v_writelane_b32 v86, s0, 30
	s_addc_u32 s0, s51, 0
	s_delay_alu instid0(SALU_CYCLE_1) | instskip(SKIP_1) | instid1(SALU_CYCLE_1)
	;; [unrolled: 5-line block ×18, first 2 shown]
	v_writelane_b32 v85, s0, 31
	s_add_u32 s0, s50, 52
	v_writelane_b32 v84, s0, 0
	s_addc_u32 s0, s51, 0
	s_add_u32 vcc_hi, s50, 54
	s_addc_u32 s45, s51, 0
	s_add_u32 s46, s50, 56
	s_addc_u32 s47, s51, 0
	s_add_u32 s52, s50, 58
	;; [unrolled: 2-line block ×4, first 2 shown]
	s_addc_u32 s58, s51, 0
	s_lshl_b32 s59, s43, 1
	s_lshl_b32 s60, s43, 2
	v_writelane_b32 v84, s0, 1
	s_branch .LBB33_69
.LBB33_68:                              ;   in Loop: Header=BB33_69 Depth=1
	s_or_b32 exec_lo, exec_lo, s0
	v_add_nc_u32_e32 v26, s44, v26
	s_delay_alu instid0(VALU_DEP_1) | instskip(SKIP_1) | instid1(SALU_CYCLE_1)
	v_cmp_le_i32_e32 vcc_lo, s39, v26
	s_or_b32 s41, vcc_lo, s41
	s_and_not1_b32 exec_lo, exec_lo, s41
	s_cbranch_execz .LBB33_249
.LBB33_69:                              ; =>This Loop Header: Depth=1
                                        ;     Child Loop BB33_72 Depth 2
                                        ;     Child Loop BB33_85 Depth 2
	s_and_not1_b32 vcc_lo, exec_lo, s42
	s_cbranch_vccnz .LBB33_75
; %bb.70:                               ;   in Loop: Header=BB33_69 Depth=1
	v_dual_mov_b32 v1, v17 :: v_dual_mov_b32 v2, v18
	v_dual_mov_b32 v3, v25 :: v_dual_mov_b32 v4, v0
	s_mov_b32 s1, 0
	s_branch .LBB33_72
	.p2align	6
.LBB33_71:                              ;   in Loop: Header=BB33_72 Depth=2
	s_or_b32 exec_lo, exec_lo, s0
	v_add_nc_u32_e32 v4, s43, v4
	v_add_co_u32 v1, s0, v1, s60
	v_add_nc_u32_e32 v3, s59, v3
	v_add_co_ci_u32_e64 v2, s0, 0, v2, s0
	s_delay_alu instid0(VALU_DEP_4) | instskip(SKIP_1) | instid1(SALU_CYCLE_1)
	v_cmp_lt_u32_e32 vcc_lo, 0x7ff, v4
	s_or_b32 s1, vcc_lo, s1
	s_and_not1_b32 exec_lo, exec_lo, s1
	s_cbranch_execz .LBB33_74
.LBB33_72:                              ;   Parent Loop BB33_69 Depth=1
                                        ; =>  This Inner Loop Header: Depth=2
	s_delay_alu instid0(VALU_DEP_1) | instskip(SKIP_1) | instid1(VALU_DEP_1)
	v_add_nc_u32_e32 v5, v23, v4
	s_mov_b32 s0, exec_lo
	v_cmpx_gt_i32_e64 s39, v5
	s_cbranch_execz .LBB33_71
; %bb.73:                               ;   in Loop: Header=BB33_72 Depth=2
	global_load_b32 v5, v[1:2], off
	s_waitcnt vmcnt(0)
	v_cvt_f16_f32_e32 v5, v5
	ds_store_b16 v3, v5
	s_branch .LBB33_71
.LBB33_74:                              ;   in Loop: Header=BB33_69 Depth=1
	s_or_b32 exec_lo, exec_lo, s1
	s_waitcnt lgkmcnt(0)
	s_waitcnt_vscnt null, 0x0
	s_barrier
	buffer_gl0_inv
.LBB33_75:                              ;   in Loop: Header=BB33_69 Depth=1
	v_add_nc_u32_e32 v27, v26, v24
	s_and_not1_b32 vcc_lo, exec_lo, s38
	s_cbranch_vccnz .LBB33_77
; %bb.76:                               ;   in Loop: Header=BB33_69 Depth=1
	s_delay_alu instid0(VALU_DEP_1)
	v_or_b32_e32 v48, 8, v27
	s_mov_b32 s5, 0
	s_mov_b32 s0, 0
	s_branch .LBB33_78
.LBB33_77:                              ;   in Loop: Header=BB33_69 Depth=1
	s_mov_b32 s5, -1
                                        ; implicit-def: $sgpr0
                                        ; implicit-def: $vgpr48
.LBB33_78:                              ;   in Loop: Header=BB33_69 Depth=1
	s_delay_alu instid0(VALU_DEP_1)
	v_or_b32_e32 v40, 16, v27
	v_mov_b32_e32 v63, s0
	v_or_b32_e32 v30, 24, v27
	v_add_nc_u32_e32 v33, 32, v27
	s_and_not1_b32 vcc_lo, exec_lo, s5
	v_cmp_gt_i32_e64 s0, s39, v40
	v_mov_b32_e32 v62, v63
	v_cmp_le_i32_e64 s1, s39, v40
	v_cmp_gt_i32_e64 s2, s39, v30
	v_cmp_le_i32_e64 s3, s39, v30
	v_cmp_le_i32_e64 s4, s39, v33
	v_mov_b32_e32 v61, v63
	v_mov_b32_e32 v60, v63
	;; [unrolled: 1-line block ×30, first 2 shown]
	s_cbranch_vccnz .LBB33_169
; %bb.79:                               ;   in Loop: Header=BB33_69 Depth=1
	v_or_b32_e32 v1, 1, v27
	v_or_b32_e32 v2, 2, v27
	;; [unrolled: 1-line block ×5, first 2 shown]
	v_cmp_gt_i32_e64 s7, s39, v1
	v_cmp_gt_i32_e64 s8, s39, v2
	v_cmp_gt_i32_e64 s9, s39, v3
	v_or_b32_e32 v1, 4, v27
	v_or_b32_e32 v2, 5, v27
	v_or_b32_e32 v3, 6, v27
	v_cmp_gt_i32_e64 s13, s39, v4
	v_cmp_gt_i32_e64 s14, s39, v5
	v_cmp_gt_i32_e64 s10, s39, v1
	v_cmp_gt_i32_e64 s11, s39, v2
	v_cmp_gt_i32_e64 s12, s39, v3
	v_or_b32_e32 v1, 10, v27
	v_or_b32_e32 v2, 11, v27
	v_or_b32_e32 v3, 12, v27
	v_or_b32_e32 v4, 13, v27
	v_or_b32_e32 v5, 14, v27
	v_cmp_gt_i32_e64 s15, s39, v1
	v_cmp_gt_i32_e64 s16, s39, v2
	v_cmp_gt_i32_e64 s17, s39, v3
	v_cmp_gt_i32_e64 s18, s39, v4
	v_cmp_gt_i32_e64 s19, s39, v5
	v_or_b32_e32 v1, 15, v27
	v_or_b32_e32 v2, 17, v27
	;; [unrolled: 10-line block ×3, first 2 shown]
	v_or_b32_e32 v3, 23, v27
	v_or_b32_e32 v4, 25, v27
	;; [unrolled: 1-line block ×4, first 2 shown]
	v_cmp_gt_i32_e64 s25, s39, v1
	v_cmp_gt_i32_e64 s26, s39, v2
	;; [unrolled: 1-line block ×5, first 2 shown]
	v_or_b32_e32 v1, 27, v27
	v_or_b32_e32 v2, 28, v27
	;; [unrolled: 1-line block ×5, first 2 shown]
	v_cmp_gt_i32_e32 vcc_lo, s39, v27
	v_cmp_gt_i32_e64 s5, s39, v48
	v_cmp_le_i32_e64 s6, s39, v48
	v_cmp_gt_i32_e64 s30, s39, v1
	v_cmp_gt_i32_e64 s31, s39, v2
	;; [unrolled: 1-line block ×5, first 2 shown]
	v_ashrrev_i32_e32 v64, 31, v27
	v_dual_mov_b32 v65, 64 :: v_dual_mov_b32 v66, 0
	v_dual_mov_b32 v28, 0 :: v_dual_mov_b32 v29, 0
	;; [unrolled: 1-line block ×16, first 2 shown]
	v_mov_b32_e32 v61, 0
	v_mov_b32_e32 v63, 0
	s_mov_b32 s37, s61
	s_branch .LBB33_85
.LBB33_80:                              ;   in Loop: Header=BB33_85 Depth=2
	s_or_b32 exec_lo, exec_lo, s36
	s_waitcnt vmcnt(0)
	v_fma_mixlo_f16 v37, v13, v76, v37 op_sel_hi:[1,0,1]
	v_fma_mixlo_f16 v35, v14, v76, v35 op_sel_hi:[1,0,1]
	;; [unrolled: 1-line block ×8, first 2 shown]
.LBB33_81:                              ;   in Loop: Header=BB33_85 Depth=2
	s_or_b32 exec_lo, exec_lo, s99
	s_waitcnt vmcnt(0)
	v_fma_mixlo_f16 v46, v9, v76, v46 op_sel_hi:[1,0,1]
	v_fma_mixlo_f16 v44, v10, v76, v44 op_sel_hi:[1,0,1]
	;; [unrolled: 1-line block ×8, first 2 shown]
.LBB33_82:                              ;   in Loop: Header=BB33_85 Depth=2
	s_or_b32 exec_lo, exec_lo, s98
	s_delay_alu instid0(VALU_DEP_1)
	v_fma_mixlo_f16 v55, v5, v76, v55 op_sel_hi:[1,0,1]
	v_fma_mixlo_f16 v53, v6, v76, v53 op_sel_hi:[1,0,1]
	;; [unrolled: 1-line block ×7, first 2 shown]
	s_waitcnt vmcnt(0)
	v_fma_mixlo_f16 v47, v75, v76, v47 op_sel_hi:[1,0,1]
.LBB33_83:                              ;   in Loop: Header=BB33_85 Depth=2
	s_or_b32 exec_lo, exec_lo, s97
	s_waitcnt vmcnt(0)
	v_fma_mixlo_f16 v63, v1, v71, v63 op_sel_hi:[1,1,1]
	v_fma_mixlo_f16 v61, v2, v71, v61 op_sel_hi:[1,1,1]
	;; [unrolled: 1-line block ×8, first 2 shown]
.LBB33_84:                              ;   in Loop: Header=BB33_85 Depth=2
	s_or_b32 exec_lo, exec_lo, s62
	v_add_nc_u32_e32 v65, 4, v65
	v_add_nc_u32_e32 v66, 2, v66
	s_add_i32 s37, s37, -1
	s_delay_alu instid0(SALU_CYCLE_1)
	s_cmp_eq_u32 s37, 0
	s_cbranch_scc1 .LBB33_169
.LBB33_85:                              ;   Parent Loop BB33_69 Depth=1
                                        ; =>  This Inner Loop Header: Depth=2
	s_and_saveexec_b32 s62, vcc_lo
	s_cbranch_execz .LBB33_84
; %bb.86:                               ;   in Loop: Header=BB33_85 Depth=2
	scratch_load_b32 v1, v65, off
	s_mov_b32 s99, 0
                                        ; implicit-def: $vgpr67
                                        ; implicit-def: $vgpr68
                                        ; implicit-def: $vgpr69
                                        ; implicit-def: $sgpr97
                                        ; implicit-def: $vgpr5_vgpr6
	s_waitcnt vmcnt(0)
	v_mul_lo_u32 v21, v1, s39
                                        ; implicit-def: $vgpr1
	s_delay_alu instid0(VALU_DEP_1) | instskip(SKIP_1) | instid1(SALU_CYCLE_1)
	v_add_nc_u32_e32 v7, v27, v21
	s_and_saveexec_b32 s36, s6
	s_xor_b32 s98, exec_lo, s36
	s_cbranch_execz .LBB33_104
; %bb.87:                               ;   in Loop: Header=BB33_85 Depth=2
	s_delay_alu instid0(VALU_DEP_1) | instskip(SKIP_1) | instid1(VALU_DEP_2)
	v_ashrrev_i32_e32 v8, 31, v7
	v_mov_b32_e32 v67, 0
	v_lshlrev_b64 v[1:2], 1, v[7:8]
	s_delay_alu instid0(VALU_DEP_1) | instskip(NEXT) | instid1(VALU_DEP_1)
	v_add_co_u32 v7, s36, s48, v1
	v_add_co_ci_u32_e64 v8, s36, s49, v2, s36
	v_mov_b32_e32 v2, 0
	global_load_u16 v1, v[7:8], off
	s_and_saveexec_b32 s36, s7
	s_cbranch_execz .LBB33_89
; %bb.88:                               ;   in Loop: Header=BB33_85 Depth=2
	global_load_u16 v67, v[7:8], off offset:2
.LBB33_89:                              ;   in Loop: Header=BB33_85 Depth=2
	s_or_b32 exec_lo, exec_lo, s36
	s_and_saveexec_b32 s36, s8
	s_cbranch_execz .LBB33_91
; %bb.90:                               ;   in Loop: Header=BB33_85 Depth=2
	global_load_u16 v2, v[7:8], off offset:4
.LBB33_91:                              ;   in Loop: Header=BB33_85 Depth=2
	s_or_b32 exec_lo, exec_lo, s36
	v_dual_mov_b32 v3, 0 :: v_dual_mov_b32 v68, 0
	s_and_saveexec_b32 s36, s9
	s_cbranch_execz .LBB33_93
; %bb.92:                               ;   in Loop: Header=BB33_85 Depth=2
	global_load_u16 v68, v[7:8], off offset:6
.LBB33_93:                              ;   in Loop: Header=BB33_85 Depth=2
	s_or_b32 exec_lo, exec_lo, s36
	s_and_saveexec_b32 s36, s10
	s_cbranch_execz .LBB33_95
; %bb.94:                               ;   in Loop: Header=BB33_85 Depth=2
	global_load_u16 v3, v[7:8], off offset:8
.LBB33_95:                              ;   in Loop: Header=BB33_85 Depth=2
	s_or_b32 exec_lo, exec_lo, s36
	v_dual_mov_b32 v4, 0 :: v_dual_mov_b32 v69, 0
	s_and_saveexec_b32 s36, s11
	s_cbranch_execz .LBB33_97
; %bb.96:                               ;   in Loop: Header=BB33_85 Depth=2
	global_load_u16 v69, v[7:8], off offset:10
.LBB33_97:                              ;   in Loop: Header=BB33_85 Depth=2
	s_or_b32 exec_lo, exec_lo, s36
	s_and_saveexec_b32 s36, s12
	s_cbranch_execz .LBB33_99
; %bb.98:                               ;   in Loop: Header=BB33_85 Depth=2
	global_load_u16 v4, v[7:8], off offset:12
.LBB33_99:                              ;   in Loop: Header=BB33_85 Depth=2
	s_or_b32 exec_lo, exec_lo, s36
	s_mov_b32 s97, 0
                                        ; implicit-def: $vgpr5_vgpr6
	s_and_saveexec_b32 s36, s13
	s_delay_alu instid0(SALU_CYCLE_1)
	s_xor_b32 s100, exec_lo, s36
; %bb.100:                              ;   in Loop: Header=BB33_85 Depth=2
	v_add_co_u32 v5, s36, v7, 14
	s_delay_alu instid0(VALU_DEP_1)
	v_add_co_ci_u32_e64 v6, s36, 0, v8, s36
	s_mov_b32 s99, exec_lo
; %bb.101:                              ;   in Loop: Header=BB33_85 Depth=2
	s_or_b32 exec_lo, exec_lo, s100
	s_delay_alu instid0(SALU_CYCLE_1)
	s_and_b32 s99, s99, exec_lo
                                        ; implicit-def: $vgpr7
	s_and_not1_saveexec_b32 s98, s98
	s_cbranch_execnz .LBB33_105
.LBB33_102:                             ;   in Loop: Header=BB33_85 Depth=2
	s_or_b32 exec_lo, exec_lo, s98
	v_mov_b32_e32 v70, s97
	s_and_saveexec_b32 s36, s99
	s_cbranch_execz .LBB33_106
.LBB33_103:                             ;   in Loop: Header=BB33_85 Depth=2
	global_load_u16 v70, v[5:6], off
	s_or_b32 exec_lo, exec_lo, s36
	scratch_load_u16 v71, v66, off
	s_and_saveexec_b32 s97, s5
	s_cbranch_execz .LBB33_83
	s_branch .LBB33_107
.LBB33_104:                             ;   in Loop: Header=BB33_85 Depth=2
	s_and_not1_saveexec_b32 s98, s98
	s_cbranch_execz .LBB33_102
.LBB33_105:                             ;   in Loop: Header=BB33_85 Depth=2
	s_waitcnt vmcnt(0)
	v_ashrrev_i32_e32 v1, 31, v7
	s_or_b32 s99, s99, exec_lo
	s_delay_alu instid0(VALU_DEP_1) | instskip(NEXT) | instid1(VALU_DEP_1)
	v_lshrrev_b32_e32 v1, 29, v1
	v_add_nc_u32_e32 v1, v7, v1
	s_delay_alu instid0(VALU_DEP_1) | instskip(NEXT) | instid1(VALU_DEP_1)
	v_ashrrev_i32_e32 v1, 3, v1
	v_ashrrev_i32_e32 v2, 31, v1
	s_delay_alu instid0(VALU_DEP_1) | instskip(NEXT) | instid1(VALU_DEP_1)
	v_lshlrev_b64 v[1:2], 4, v[1:2]
	v_add_co_u32 v5, s36, s48, v1
	s_delay_alu instid0(VALU_DEP_1) | instskip(SKIP_2) | instid1(VALU_DEP_1)
	v_add_co_ci_u32_e64 v6, s36, s49, v2, s36
	global_load_b128 v[1:4], v[5:6], off
	v_add_co_u32 v5, s36, v5, 14
	v_add_co_ci_u32_e64 v6, s36, 0, v6, s36
	s_waitcnt vmcnt(0)
	v_lshrrev_b32_e32 v67, 16, v1
	v_lshrrev_b32_e32 v68, 16, v2
	;; [unrolled: 1-line block ×3, first 2 shown]
	s_or_b32 exec_lo, exec_lo, s98
	v_mov_b32_e32 v70, s97
	s_and_saveexec_b32 s36, s99
	s_cbranch_execnz .LBB33_103
.LBB33_106:                             ;   in Loop: Header=BB33_85 Depth=2
	s_or_b32 exec_lo, exec_lo, s36
	scratch_load_u16 v71, v66, off
	s_and_saveexec_b32 s97, s5
	s_cbranch_execz .LBB33_83
.LBB33_107:                             ;   in Loop: Header=BB33_85 Depth=2
	s_mov_b32 s100, 0
                                        ; implicit-def: $vgpr5
                                        ; implicit-def: $vgpr72
                                        ; implicit-def: $vgpr73
                                        ; implicit-def: $vgpr74
                                        ; implicit-def: $vgpr9_vgpr10
                                        ; implicit-def: $sgpr99
	s_and_saveexec_b32 s36, s1
	s_delay_alu instid0(SALU_CYCLE_1)
	s_xor_b32 s98, exec_lo, s36
	s_cbranch_execz .LBB33_118
; %bb.108:                              ;   in Loop: Header=BB33_85 Depth=2
	v_ashrrev_i32_e32 v6, 31, v21
	v_add_co_u32 v5, s36, v27, v21
	v_mov_b32_e32 v72, 0
	s_delay_alu instid0(VALU_DEP_3) | instskip(NEXT) | instid1(VALU_DEP_1)
	v_add_co_ci_u32_e64 v6, s36, v64, v6, s36
	v_lshlrev_b64 v[11:12], 1, v[5:6]
	s_delay_alu instid0(VALU_DEP_1) | instskip(NEXT) | instid1(VALU_DEP_1)
	v_add_co_u32 v5, s36, s63, v11
	v_add_co_ci_u32_e64 v6, s36, s64, v12, s36
	global_load_u16 v5, v[5:6], off
	v_mov_b32_e32 v6, 0
	s_and_saveexec_b32 s99, s14
	s_cbranch_execz .LBB33_110
; %bb.109:                              ;   in Loop: Header=BB33_85 Depth=2
	v_add_co_u32 v7, s36, s65, v11
	s_delay_alu instid0(VALU_DEP_1)
	v_add_co_ci_u32_e64 v8, s36, s66, v12, s36
	global_load_u16 v72, v[7:8], off
.LBB33_110:                             ;   in Loop: Header=BB33_85 Depth=2
	s_or_b32 exec_lo, exec_lo, s99
	s_and_saveexec_b32 s99, s15
	s_cbranch_execz .LBB33_112
; %bb.111:                              ;   in Loop: Header=BB33_85 Depth=2
	v_add_co_u32 v6, s36, s67, v11
	s_delay_alu instid0(VALU_DEP_1)
	v_add_co_ci_u32_e64 v7, s36, s68, v12, s36
	global_load_u16 v6, v[6:7], off
.LBB33_112:                             ;   in Loop: Header=BB33_85 Depth=2
	s_or_b32 exec_lo, exec_lo, s99
	v_mov_b32_e32 v7, 0
	v_mov_b32_e32 v73, 0
	s_and_saveexec_b32 s99, s16
	s_cbranch_execz .LBB33_114
; %bb.113:                              ;   in Loop: Header=BB33_85 Depth=2
	v_add_co_u32 v8, s36, s69, v11
	s_delay_alu instid0(VALU_DEP_1)
	v_add_co_ci_u32_e64 v9, s36, s70, v12, s36
	global_load_u16 v73, v[8:9], off
.LBB33_114:                             ;   in Loop: Header=BB33_85 Depth=2
	s_or_b32 exec_lo, exec_lo, s99
	s_and_saveexec_b32 s99, s17
	s_cbranch_execz .LBB33_116
; %bb.115:                              ;   in Loop: Header=BB33_85 Depth=2
	v_add_co_u32 v7, s36, s71, v11
	s_delay_alu instid0(VALU_DEP_1)
	v_add_co_ci_u32_e64 v8, s36, s72, v12, s36
	global_load_u16 v7, v[7:8], off
.LBB33_116:                             ;   in Loop: Header=BB33_85 Depth=2
	s_or_b32 exec_lo, exec_lo, s99
	v_mov_b32_e32 v8, 0
	v_mov_b32_e32 v74, 0
	s_and_saveexec_b32 s99, s18
	s_cbranch_execz .LBB33_121
; %bb.117:                              ;   in Loop: Header=BB33_85 Depth=2
	v_add_co_u32 v9, s36, s73, v11
	s_delay_alu instid0(VALU_DEP_1)
	v_add_co_ci_u32_e64 v10, s36, s74, v12, s36
	global_load_u16 v74, v[9:10], off
	s_or_b32 exec_lo, exec_lo, s99
	s_and_saveexec_b32 s99, s19
	s_cbranch_execz .LBB33_123
	s_branch .LBB33_122
.LBB33_118:                             ;   in Loop: Header=BB33_85 Depth=2
	s_and_not1_saveexec_b32 s98, s98
	s_cbranch_execz .LBB33_126
.LBB33_119:                             ;   in Loop: Header=BB33_85 Depth=2
	s_waitcnt vmcnt(0)
	v_add_nc_u32_e32 v5, v48, v21
	s_or_b32 s100, s100, exec_lo
	s_delay_alu instid0(VALU_DEP_1) | instskip(NEXT) | instid1(VALU_DEP_1)
	v_ashrrev_i32_e32 v6, 31, v5
	v_lshrrev_b32_e32 v6, 29, v6
	s_delay_alu instid0(VALU_DEP_1) | instskip(NEXT) | instid1(VALU_DEP_1)
	v_add_nc_u32_e32 v5, v5, v6
	v_ashrrev_i32_e32 v5, 3, v5
	s_delay_alu instid0(VALU_DEP_1) | instskip(NEXT) | instid1(VALU_DEP_1)
	v_ashrrev_i32_e32 v6, 31, v5
	v_lshlrev_b64 v[5:6], 4, v[5:6]
	s_delay_alu instid0(VALU_DEP_1) | instskip(NEXT) | instid1(VALU_DEP_1)
	v_add_co_u32 v9, s36, s48, v5
	v_add_co_ci_u32_e64 v10, s36, s49, v6, s36
	global_load_b128 v[5:8], v[9:10], off
	v_add_co_u32 v9, s36, v9, 14
	s_delay_alu instid0(VALU_DEP_1)
	v_add_co_ci_u32_e64 v10, s36, 0, v10, s36
	s_waitcnt vmcnt(0)
	v_lshrrev_b32_e32 v72, 16, v5
	v_lshrrev_b32_e32 v73, 16, v6
	;; [unrolled: 1-line block ×3, first 2 shown]
	s_or_b32 exec_lo, exec_lo, s98
	v_mov_b32_e32 v75, s99
	s_and_saveexec_b32 s36, s100
	s_cbranch_execnz .LBB33_127
.LBB33_120:                             ;   in Loop: Header=BB33_85 Depth=2
	s_or_b32 exec_lo, exec_lo, s36
	s_waitcnt vmcnt(0)
	v_cvt_f32_f16_e32 v76, v71
	s_and_saveexec_b32 s98, s0
	s_cbranch_execz .LBB33_82
	s_branch .LBB33_128
.LBB33_121:                             ;   in Loop: Header=BB33_85 Depth=2
	s_or_b32 exec_lo, exec_lo, s99
	s_and_saveexec_b32 s99, s19
	s_cbranch_execz .LBB33_123
.LBB33_122:                             ;   in Loop: Header=BB33_85 Depth=2
	v_add_co_u32 v8, s36, s75, v11
	s_delay_alu instid0(VALU_DEP_1)
	v_add_co_ci_u32_e64 v9, s36, s76, v12, s36
	global_load_u16 v8, v[8:9], off
.LBB33_123:                             ;   in Loop: Header=BB33_85 Depth=2
	s_or_b32 exec_lo, exec_lo, s99
	s_mov_b32 s99, 0
                                        ; implicit-def: $vgpr9_vgpr10
	s_and_saveexec_b32 s101, s20
; %bb.124:                              ;   in Loop: Header=BB33_85 Depth=2
	v_add_co_u32 v9, s36, s77, v11
	s_delay_alu instid0(VALU_DEP_1)
	v_add_co_ci_u32_e64 v10, s36, s78, v12, s36
	s_mov_b32 s100, exec_lo
; %bb.125:                              ;   in Loop: Header=BB33_85 Depth=2
	s_or_b32 exec_lo, exec_lo, s101
	s_delay_alu instid0(SALU_CYCLE_1)
	s_and_b32 s100, s100, exec_lo
	s_and_not1_saveexec_b32 s98, s98
	s_cbranch_execnz .LBB33_119
.LBB33_126:                             ;   in Loop: Header=BB33_85 Depth=2
	s_or_b32 exec_lo, exec_lo, s98
	v_mov_b32_e32 v75, s99
	s_and_saveexec_b32 s36, s100
	s_cbranch_execz .LBB33_120
.LBB33_127:                             ;   in Loop: Header=BB33_85 Depth=2
	global_load_u16 v75, v[9:10], off
	s_or_b32 exec_lo, exec_lo, s36
	s_waitcnt vmcnt(1)
	v_cvt_f32_f16_e32 v76, v71
	s_and_saveexec_b32 s98, s0
	s_cbranch_execz .LBB33_82
.LBB33_128:                             ;   in Loop: Header=BB33_85 Depth=2
	s_mov_b32 s101, 0
                                        ; implicit-def: $vgpr9
                                        ; implicit-def: $vgpr77
                                        ; implicit-def: $vgpr78
                                        ; implicit-def: $vgpr79
                                        ; implicit-def: $vgpr13_vgpr14
                                        ; implicit-def: $sgpr100
	s_and_saveexec_b32 s36, s3
	s_delay_alu instid0(SALU_CYCLE_1)
	s_xor_b32 s99, exec_lo, s36
	s_cbranch_execz .LBB33_139
; %bb.129:                              ;   in Loop: Header=BB33_85 Depth=2
	v_ashrrev_i32_e32 v10, 31, v21
	v_add_co_u32 v9, s36, v27, v21
	v_mov_b32_e32 v77, 0
	s_delay_alu instid0(VALU_DEP_3) | instskip(NEXT) | instid1(VALU_DEP_1)
	v_add_co_ci_u32_e64 v10, s36, v64, v10, s36
	v_lshlrev_b64 v[15:16], 1, v[9:10]
	s_delay_alu instid0(VALU_DEP_1) | instskip(NEXT) | instid1(VALU_DEP_1)
	v_add_co_u32 v9, s36, s79, v15
	v_add_co_ci_u32_e64 v10, s36, s80, v16, s36
	global_load_u16 v9, v[9:10], off
	v_mov_b32_e32 v10, 0
	s_and_saveexec_b32 s100, s21
	s_cbranch_execz .LBB33_131
; %bb.130:                              ;   in Loop: Header=BB33_85 Depth=2
	v_add_co_u32 v11, s36, s81, v15
	s_delay_alu instid0(VALU_DEP_1)
	v_add_co_ci_u32_e64 v12, s36, s82, v16, s36
	global_load_u16 v77, v[11:12], off
.LBB33_131:                             ;   in Loop: Header=BB33_85 Depth=2
	s_or_b32 exec_lo, exec_lo, s100
	s_and_saveexec_b32 s100, s22
	s_cbranch_execz .LBB33_133
; %bb.132:                              ;   in Loop: Header=BB33_85 Depth=2
	v_add_co_u32 v10, s36, s83, v15
	s_delay_alu instid0(VALU_DEP_1)
	v_add_co_ci_u32_e64 v11, s36, s84, v16, s36
	global_load_u16 v10, v[10:11], off
.LBB33_133:                             ;   in Loop: Header=BB33_85 Depth=2
	s_or_b32 exec_lo, exec_lo, s100
	v_dual_mov_b32 v11, 0 :: v_dual_mov_b32 v78, 0
	s_and_saveexec_b32 s100, s23
	s_cbranch_execz .LBB33_135
; %bb.134:                              ;   in Loop: Header=BB33_85 Depth=2
	v_add_co_u32 v12, s36, s85, v15
	s_delay_alu instid0(VALU_DEP_1)
	v_add_co_ci_u32_e64 v13, s36, s86, v16, s36
	global_load_u16 v78, v[12:13], off
.LBB33_135:                             ;   in Loop: Header=BB33_85 Depth=2
	s_or_b32 exec_lo, exec_lo, s100
	s_and_saveexec_b32 s100, s24
	s_cbranch_execz .LBB33_137
; %bb.136:                              ;   in Loop: Header=BB33_85 Depth=2
	v_add_co_u32 v11, s36, s87, v15
	s_delay_alu instid0(VALU_DEP_1)
	v_add_co_ci_u32_e64 v12, s36, s88, v16, s36
	global_load_u16 v11, v[11:12], off
.LBB33_137:                             ;   in Loop: Header=BB33_85 Depth=2
	s_or_b32 exec_lo, exec_lo, s100
	v_dual_mov_b32 v12, 0 :: v_dual_mov_b32 v79, 0
	s_and_saveexec_b32 s100, s25
	s_cbranch_execz .LBB33_142
; %bb.138:                              ;   in Loop: Header=BB33_85 Depth=2
	v_add_co_u32 v13, s36, s89, v15
	s_delay_alu instid0(VALU_DEP_1)
	v_add_co_ci_u32_e64 v14, s36, s90, v16, s36
	global_load_u16 v79, v[13:14], off
	s_or_b32 exec_lo, exec_lo, s100
	s_and_saveexec_b32 s100, s26
	s_cbranch_execz .LBB33_144
	s_branch .LBB33_143
.LBB33_139:                             ;   in Loop: Header=BB33_85 Depth=2
	s_and_not1_saveexec_b32 s99, s99
	s_cbranch_execz .LBB33_147
.LBB33_140:                             ;   in Loop: Header=BB33_85 Depth=2
	s_waitcnt vmcnt(0)
	v_add_nc_u32_e32 v9, v40, v21
	s_or_b32 s101, s101, exec_lo
	s_delay_alu instid0(VALU_DEP_1) | instskip(NEXT) | instid1(VALU_DEP_1)
	v_ashrrev_i32_e32 v10, 31, v9
	v_lshrrev_b32_e32 v10, 29, v10
	s_delay_alu instid0(VALU_DEP_1) | instskip(NEXT) | instid1(VALU_DEP_1)
	v_add_nc_u32_e32 v9, v9, v10
	v_ashrrev_i32_e32 v9, 3, v9
	s_delay_alu instid0(VALU_DEP_1) | instskip(NEXT) | instid1(VALU_DEP_1)
	v_ashrrev_i32_e32 v10, 31, v9
	v_lshlrev_b64 v[9:10], 4, v[9:10]
	s_delay_alu instid0(VALU_DEP_1) | instskip(NEXT) | instid1(VALU_DEP_1)
	v_add_co_u32 v13, s36, s48, v9
	v_add_co_ci_u32_e64 v14, s36, s49, v10, s36
	global_load_b128 v[9:12], v[13:14], off
	v_add_co_u32 v13, s36, v13, 14
	s_delay_alu instid0(VALU_DEP_1)
	v_add_co_ci_u32_e64 v14, s36, 0, v14, s36
	s_waitcnt vmcnt(0)
	v_lshrrev_b32_e32 v77, 16, v9
	v_lshrrev_b32_e32 v78, 16, v10
	;; [unrolled: 1-line block ×3, first 2 shown]
	s_or_b32 exec_lo, exec_lo, s99
	v_mov_b32_e32 v80, s100
	s_and_saveexec_b32 s36, s101
	s_cbranch_execnz .LBB33_148
.LBB33_141:                             ;   in Loop: Header=BB33_85 Depth=2
	s_or_b32 exec_lo, exec_lo, s36
	s_and_saveexec_b32 s99, s2
	s_cbranch_execz .LBB33_81
	s_branch .LBB33_149
.LBB33_142:                             ;   in Loop: Header=BB33_85 Depth=2
	s_or_b32 exec_lo, exec_lo, s100
	s_and_saveexec_b32 s100, s26
	s_cbranch_execz .LBB33_144
.LBB33_143:                             ;   in Loop: Header=BB33_85 Depth=2
	v_add_co_u32 v12, s36, s91, v15
	s_delay_alu instid0(VALU_DEP_1)
	v_add_co_ci_u32_e64 v13, s36, s92, v16, s36
	global_load_u16 v12, v[12:13], off
.LBB33_144:                             ;   in Loop: Header=BB33_85 Depth=2
	s_or_b32 exec_lo, exec_lo, s100
	s_mov_b32 s100, 0
                                        ; implicit-def: $vgpr13_vgpr14
	s_and_saveexec_b32 s102, s27
; %bb.145:                              ;   in Loop: Header=BB33_85 Depth=2
	v_add_co_u32 v13, s36, s93, v15
	s_delay_alu instid0(VALU_DEP_1)
	v_add_co_ci_u32_e64 v14, s36, s94, v16, s36
	s_mov_b32 s101, exec_lo
; %bb.146:                              ;   in Loop: Header=BB33_85 Depth=2
	s_or_b32 exec_lo, exec_lo, s102
	s_delay_alu instid0(SALU_CYCLE_1)
	s_and_b32 s101, s101, exec_lo
	s_and_not1_saveexec_b32 s99, s99
	s_cbranch_execnz .LBB33_140
.LBB33_147:                             ;   in Loop: Header=BB33_85 Depth=2
	s_or_b32 exec_lo, exec_lo, s99
	v_mov_b32_e32 v80, s100
	s_and_saveexec_b32 s36, s101
	s_cbranch_execz .LBB33_141
.LBB33_148:                             ;   in Loop: Header=BB33_85 Depth=2
	global_load_u16 v80, v[13:14], off
	s_or_b32 exec_lo, exec_lo, s36
	s_and_saveexec_b32 s99, s2
	s_cbranch_execz .LBB33_81
.LBB33_149:                             ;   in Loop: Header=BB33_85 Depth=2
	s_mov_b32 s102, 0
                                        ; implicit-def: $vgpr13
                                        ; implicit-def: $vgpr81
                                        ; implicit-def: $vgpr82
                                        ; implicit-def: $vgpr83
                                        ; implicit-def: $vgpr19_vgpr20
                                        ; implicit-def: $sgpr101
	s_and_saveexec_b32 s36, s4
	s_delay_alu instid0(SALU_CYCLE_1)
	s_xor_b32 s100, exec_lo, s36
	s_cbranch_execz .LBB33_166
; %bb.150:                              ;   in Loop: Header=BB33_85 Depth=2
	v_ashrrev_i32_e32 v14, 31, v21
	v_add_co_u32 v13, s36, v27, v21
	v_mov_b32_e32 v81, 0
	s_delay_alu instid0(VALU_DEP_3) | instskip(NEXT) | instid1(VALU_DEP_1)
	v_add_co_ci_u32_e64 v14, s36, v64, v14, s36
	v_lshlrev_b64 v[21:22], 1, v[13:14]
	s_delay_alu instid0(VALU_DEP_1) | instskip(NEXT) | instid1(VALU_DEP_1)
	v_add_co_u32 v13, s36, s95, v21
	v_add_co_ci_u32_e64 v14, s36, s96, v22, s36
	global_load_u16 v13, v[13:14], off
	v_mov_b32_e32 v14, 0
	s_and_saveexec_b32 s101, s28
	s_cbranch_execz .LBB33_152
; %bb.151:                              ;   in Loop: Header=BB33_85 Depth=2
	v_readlane_b32 s36, v86, 14
	v_readlane_b32 s102, v86, 15
	s_delay_alu instid0(VALU_DEP_2) | instskip(NEXT) | instid1(VALU_DEP_1)
	v_add_co_u32 v15, s36, s36, v21
	v_add_co_ci_u32_e64 v16, s36, s102, v22, s36
	global_load_u16 v81, v[15:16], off
.LBB33_152:                             ;   in Loop: Header=BB33_85 Depth=2
	s_or_b32 exec_lo, exec_lo, s101
	s_and_saveexec_b32 s101, s29
	s_cbranch_execz .LBB33_154
; %bb.153:                              ;   in Loop: Header=BB33_85 Depth=2
	v_readlane_b32 s36, v86, 16
	v_readlane_b32 s102, v86, 17
	s_delay_alu instid0(VALU_DEP_2) | instskip(NEXT) | instid1(VALU_DEP_1)
	v_add_co_u32 v14, s36, s36, v21
	v_add_co_ci_u32_e64 v15, s36, s102, v22, s36
	global_load_u16 v14, v[14:15], off
.LBB33_154:                             ;   in Loop: Header=BB33_85 Depth=2
	s_or_b32 exec_lo, exec_lo, s101
	v_dual_mov_b32 v15, 0 :: v_dual_mov_b32 v82, 0
	s_and_saveexec_b32 s101, s30
	s_cbranch_execz .LBB33_156
; %bb.155:                              ;   in Loop: Header=BB33_85 Depth=2
	v_readlane_b32 s36, v86, 18
	v_readlane_b32 s102, v86, 19
	s_delay_alu instid0(VALU_DEP_2) | instskip(NEXT) | instid1(VALU_DEP_1)
	v_add_co_u32 v19, s36, s36, v21
	v_add_co_ci_u32_e64 v20, s36, s102, v22, s36
	global_load_u16 v82, v[19:20], off
.LBB33_156:                             ;   in Loop: Header=BB33_85 Depth=2
	s_or_b32 exec_lo, exec_lo, s101
	s_and_saveexec_b32 s101, s31
	s_cbranch_execz .LBB33_158
; %bb.157:                              ;   in Loop: Header=BB33_85 Depth=2
	v_readlane_b32 s36, v86, 20
	v_readlane_b32 s102, v86, 21
	s_delay_alu instid0(VALU_DEP_2) | instskip(NEXT) | instid1(VALU_DEP_1)
	v_add_co_u32 v15, s36, s36, v21
	v_add_co_ci_u32_e64 v16, s36, s102, v22, s36
	global_load_u16 v15, v[15:16], off
.LBB33_158:                             ;   in Loop: Header=BB33_85 Depth=2
	s_or_b32 exec_lo, exec_lo, s101
	v_dual_mov_b32 v16, 0 :: v_dual_mov_b32 v83, 0
	s_and_saveexec_b32 s101, s33
	s_cbranch_execz .LBB33_160
; %bb.159:                              ;   in Loop: Header=BB33_85 Depth=2
	v_readlane_b32 s36, v86, 22
	v_readlane_b32 s102, v86, 23
	s_delay_alu instid0(VALU_DEP_2) | instskip(NEXT) | instid1(VALU_DEP_1)
	v_add_co_u32 v19, s36, s36, v21
	v_add_co_ci_u32_e64 v20, s36, s102, v22, s36
	global_load_u16 v83, v[19:20], off
.LBB33_160:                             ;   in Loop: Header=BB33_85 Depth=2
	s_or_b32 exec_lo, exec_lo, s101
	s_and_saveexec_b32 s101, s34
	s_cbranch_execz .LBB33_162
; %bb.161:                              ;   in Loop: Header=BB33_85 Depth=2
	v_readlane_b32 s36, v86, 24
	v_readlane_b32 s102, v86, 25
	s_delay_alu instid0(VALU_DEP_2) | instskip(NEXT) | instid1(VALU_DEP_1)
	v_add_co_u32 v19, s36, s36, v21
	v_add_co_ci_u32_e64 v20, s36, s102, v22, s36
	global_load_u16 v16, v[19:20], off
.LBB33_162:                             ;   in Loop: Header=BB33_85 Depth=2
	s_or_b32 exec_lo, exec_lo, s101
	s_mov_b32 s101, 0
	s_mov_b32 s102, 0
                                        ; implicit-def: $vgpr19_vgpr20
	s_and_saveexec_b32 s103, s35
	s_cbranch_execz .LBB33_164
; %bb.163:                              ;   in Loop: Header=BB33_85 Depth=2
	v_readlane_b32 s36, v86, 26
	v_readlane_b32 s104, v86, 27
	s_mov_b32 s102, exec_lo
	s_delay_alu instid0(VALU_DEP_2) | instskip(NEXT) | instid1(VALU_DEP_1)
	v_add_co_u32 v19, s36, s36, v21
	v_add_co_ci_u32_e64 v20, s36, s104, v22, s36
.LBB33_164:                             ;   in Loop: Header=BB33_85 Depth=2
	s_or_b32 exec_lo, exec_lo, s103
	s_delay_alu instid0(SALU_CYCLE_1)
	s_and_b32 s102, s102, exec_lo
                                        ; implicit-def: $vgpr21
	s_and_not1_saveexec_b32 s100, s100
	s_cbranch_execnz .LBB33_167
.LBB33_165:                             ;   in Loop: Header=BB33_85 Depth=2
	s_or_b32 exec_lo, exec_lo, s100
	v_mov_b32_e32 v21, s101
	s_and_saveexec_b32 s36, s102
	s_cbranch_execz .LBB33_80
	s_branch .LBB33_168
.LBB33_166:                             ;   in Loop: Header=BB33_85 Depth=2
	s_and_not1_saveexec_b32 s100, s100
	s_cbranch_execz .LBB33_165
.LBB33_167:                             ;   in Loop: Header=BB33_85 Depth=2
	s_waitcnt vmcnt(0)
	v_add_nc_u32_e32 v13, v30, v21
	s_or_b32 s102, s102, exec_lo
	s_delay_alu instid0(VALU_DEP_1) | instskip(NEXT) | instid1(VALU_DEP_1)
	v_ashrrev_i32_e32 v14, 31, v13
	v_lshrrev_b32_e32 v14, 29, v14
	s_delay_alu instid0(VALU_DEP_1) | instskip(NEXT) | instid1(VALU_DEP_1)
	v_add_nc_u32_e32 v13, v13, v14
	v_ashrrev_i32_e32 v13, 3, v13
	s_delay_alu instid0(VALU_DEP_1) | instskip(NEXT) | instid1(VALU_DEP_1)
	v_ashrrev_i32_e32 v14, 31, v13
	v_lshlrev_b64 v[13:14], 4, v[13:14]
	s_delay_alu instid0(VALU_DEP_1) | instskip(NEXT) | instid1(VALU_DEP_1)
	v_add_co_u32 v19, s36, s48, v13
	v_add_co_ci_u32_e64 v20, s36, s49, v14, s36
	global_load_b128 v[13:16], v[19:20], off
	v_add_co_u32 v19, s36, v19, 14
	s_delay_alu instid0(VALU_DEP_1)
	v_add_co_ci_u32_e64 v20, s36, 0, v20, s36
	s_waitcnt vmcnt(0)
	v_lshrrev_b32_e32 v81, 16, v13
	v_lshrrev_b32_e32 v82, 16, v14
	;; [unrolled: 1-line block ×3, first 2 shown]
	s_or_b32 exec_lo, exec_lo, s100
	v_mov_b32_e32 v21, s101
	s_and_saveexec_b32 s36, s102
	s_cbranch_execz .LBB33_80
.LBB33_168:                             ;   in Loop: Header=BB33_85 Depth=2
	global_load_u16 v21, v[19:20], off
	s_branch .LBB33_80
.LBB33_169:                             ;   in Loop: Header=BB33_69 Depth=1
	v_add_nc_u32_e32 v1, s40, v27
	v_cmp_gt_i32_e32 vcc_lo, s39, v48
	s_mov_b32 s1, exec_lo
	v_cmpx_le_i32_e64 s39, v48
	s_xor_b32 s1, exec_lo, s1
	s_cbranch_execz .LBB33_187
; %bb.170:                              ;   in Loop: Header=BB33_69 Depth=1
	s_mov_b32 s2, exec_lo
	v_cmpx_gt_i32_e64 s39, v27
	s_cbranch_execz .LBB33_172
; %bb.171:                              ;   in Loop: Header=BB33_69 Depth=1
	v_ashrrev_i32_e32 v2, 31, v1
	s_delay_alu instid0(VALU_DEP_1) | instskip(NEXT) | instid1(VALU_DEP_1)
	v_lshlrev_b64 v[2:3], 1, v[1:2]
	v_add_co_u32 v2, s0, s50, v2
	s_delay_alu instid0(VALU_DEP_1)
	v_add_co_ci_u32_e64 v3, s0, s51, v3, s0
	global_load_u16 v4, v[2:3], off
	s_waitcnt vmcnt(0)
	v_add_f16_e32 v4, v4, v63
	global_store_b16 v[2:3], v4, off
.LBB33_172:                             ;   in Loop: Header=BB33_69 Depth=1
	s_or_b32 exec_lo, exec_lo, s2
	v_or_b32_e32 v2, 1, v27
	s_mov_b32 s2, exec_lo
	s_delay_alu instid0(VALU_DEP_1)
	v_cmpx_gt_i32_e64 s39, v2
	s_cbranch_execz .LBB33_174
; %bb.173:                              ;   in Loop: Header=BB33_69 Depth=1
	v_ashrrev_i32_e32 v2, 31, v1
	v_readlane_b32 s0, v86, 0
	v_readlane_b32 s3, v86, 1
	s_delay_alu instid0(VALU_DEP_3) | instskip(NEXT) | instid1(VALU_DEP_1)
	v_lshlrev_b64 v[2:3], 1, v[1:2]
	v_add_co_u32 v2, s0, s0, v2
	s_delay_alu instid0(VALU_DEP_1)
	v_add_co_ci_u32_e64 v3, s0, s3, v3, s0
	global_load_u16 v4, v[2:3], off
	s_waitcnt vmcnt(0)
	v_add_f16_e32 v4, v4, v62
	global_store_b16 v[2:3], v4, off
.LBB33_174:                             ;   in Loop: Header=BB33_69 Depth=1
	s_or_b32 exec_lo, exec_lo, s2
	v_or_b32_e32 v2, 2, v27
	s_mov_b32 s2, exec_lo
	s_delay_alu instid0(VALU_DEP_1)
	v_cmpx_gt_i32_e64 s39, v2
	s_cbranch_execz .LBB33_176
; %bb.175:                              ;   in Loop: Header=BB33_69 Depth=1
	v_ashrrev_i32_e32 v2, 31, v1
	v_readlane_b32 s0, v86, 2
	v_readlane_b32 s3, v86, 3
	s_delay_alu instid0(VALU_DEP_3) | instskip(NEXT) | instid1(VALU_DEP_1)
	v_lshlrev_b64 v[2:3], 1, v[1:2]
	v_add_co_u32 v2, s0, s0, v2
	s_delay_alu instid0(VALU_DEP_1)
	v_add_co_ci_u32_e64 v3, s0, s3, v3, s0
	global_load_u16 v4, v[2:3], off
	s_waitcnt vmcnt(0)
	v_add_f16_e32 v4, v4, v61
	global_store_b16 v[2:3], v4, off
.LBB33_176:                             ;   in Loop: Header=BB33_69 Depth=1
	;; [unrolled: 20-line block ×7, first 2 shown]
	s_or_b32 exec_lo, exec_lo, s2
                                        ; implicit-def: $vgpr1
                                        ; implicit-def: $vgpr63
                                        ; implicit-def: $vgpr62
                                        ; implicit-def: $vgpr61
                                        ; implicit-def: $vgpr60
                                        ; implicit-def: $vgpr59
                                        ; implicit-def: $vgpr58
                                        ; implicit-def: $vgpr57
                                        ; implicit-def: $vgpr56
.LBB33_187:                             ;   in Loop: Header=BB33_69 Depth=1
	s_and_not1_saveexec_b32 s1, s1
	s_cbranch_execz .LBB33_189
; %bb.188:                              ;   in Loop: Header=BB33_69 Depth=1
	v_ashrrev_i32_e32 v2, 31, v1
	s_delay_alu instid0(VALU_DEP_1) | instskip(NEXT) | instid1(VALU_DEP_1)
	v_lshrrev_b32_e32 v2, 29, v2
	v_add_nc_u32_e32 v1, v1, v2
	s_delay_alu instid0(VALU_DEP_1) | instskip(NEXT) | instid1(VALU_DEP_1)
	v_ashrrev_i32_e32 v1, 3, v1
	v_ashrrev_i32_e32 v2, 31, v1
	s_delay_alu instid0(VALU_DEP_1) | instskip(NEXT) | instid1(VALU_DEP_1)
	v_lshlrev_b64 v[1:2], 4, v[1:2]
	v_add_co_u32 v5, s0, s50, v1
	s_delay_alu instid0(VALU_DEP_1)
	v_add_co_ci_u32_e64 v6, s0, s51, v2, s0
	global_load_b128 v[1:4], v[5:6], off
	s_waitcnt vmcnt(0)
	v_add_f16_e32 v7, v63, v1
	v_add_f16_e32 v8, v61, v2
	;; [unrolled: 1-line block ×4, first 2 shown]
	v_lshrrev_b32_e32 v4, 16, v4
	v_lshrrev_b32_e32 v3, 16, v3
	;; [unrolled: 1-line block ×4, first 2 shown]
	s_delay_alu instid0(VALU_DEP_4) | instskip(NEXT) | instid1(VALU_DEP_4)
	v_add_f16_e32 v4, v56, v4
	v_add_f16_e32 v3, v58, v3
	s_delay_alu instid0(VALU_DEP_4) | instskip(NEXT) | instid1(VALU_DEP_4)
	v_add_f16_e32 v2, v60, v2
	v_add_f16_e32 v1, v62, v1
	s_delay_alu instid0(VALU_DEP_4) | instskip(NEXT) | instid1(VALU_DEP_4)
	v_pack_b32_f16 v4, v10, v4
	v_pack_b32_f16 v3, v9, v3
	s_delay_alu instid0(VALU_DEP_4) | instskip(NEXT) | instid1(VALU_DEP_4)
	v_pack_b32_f16 v2, v8, v2
	v_pack_b32_f16 v1, v7, v1
	global_store_b128 v[5:6], v[1:4], off
.LBB33_189:                             ;   in Loop: Header=BB33_69 Depth=1
	s_or_b32 exec_lo, exec_lo, s1
	v_cmp_gt_i32_e64 s0, s39, v40
	v_cmp_le_i32_e64 s1, s39, v40
	s_delay_alu instid0(VALU_DEP_1) | instskip(NEXT) | instid1(SALU_CYCLE_1)
	s_and_saveexec_b32 s2, s1
	s_xor_b32 s1, exec_lo, s2
	s_cbranch_execz .LBB33_207
; %bb.190:                              ;   in Loop: Header=BB33_69 Depth=1
	s_and_saveexec_b32 s2, vcc_lo
	s_cbranch_execz .LBB33_192
; %bb.191:                              ;   in Loop: Header=BB33_69 Depth=1
	v_ashrrev_i32_e32 v2, 31, v27
	v_add_co_u32 v1, vcc_lo, v27, s40
	v_readlane_b32 s3, v86, 28
	s_delay_alu instid0(VALU_DEP_3) | instskip(NEXT) | instid1(VALU_DEP_1)
	v_add_co_ci_u32_e32 v2, vcc_lo, s54, v2, vcc_lo
	v_lshlrev_b64 v[1:2], 1, v[1:2]
	s_delay_alu instid0(VALU_DEP_1) | instskip(SKIP_1) | instid1(VALU_DEP_1)
	v_add_co_u32 v1, vcc_lo, s3, v1
	v_readlane_b32 s3, v86, 29
	v_add_co_ci_u32_e32 v2, vcc_lo, s3, v2, vcc_lo
	global_load_u16 v3, v[1:2], off
	s_waitcnt vmcnt(0)
	v_add_f16_e32 v3, v3, v55
	global_store_b16 v[1:2], v3, off
.LBB33_192:                             ;   in Loop: Header=BB33_69 Depth=1
	s_or_b32 exec_lo, exec_lo, s2
	v_or_b32_e32 v1, 9, v27
	s_mov_b32 s2, exec_lo
	s_delay_alu instid0(VALU_DEP_1)
	v_cmpx_gt_i32_e64 s39, v1
	s_cbranch_execz .LBB33_194
; %bb.193:                              ;   in Loop: Header=BB33_69 Depth=1
	v_ashrrev_i32_e32 v2, 31, v27
	v_add_co_u32 v1, vcc_lo, v27, s40
	v_readlane_b32 s3, v86, 30
	s_delay_alu instid0(VALU_DEP_3) | instskip(NEXT) | instid1(VALU_DEP_1)
	v_add_co_ci_u32_e32 v2, vcc_lo, s54, v2, vcc_lo
	v_lshlrev_b64 v[1:2], 1, v[1:2]
	s_delay_alu instid0(VALU_DEP_1) | instskip(SKIP_1) | instid1(VALU_DEP_1)
	v_add_co_u32 v1, vcc_lo, s3, v1
	v_readlane_b32 s3, v86, 31
	v_add_co_ci_u32_e32 v2, vcc_lo, s3, v2, vcc_lo
	global_load_u16 v3, v[1:2], off
	s_waitcnt vmcnt(0)
	v_add_f16_e32 v3, v3, v54
	global_store_b16 v[1:2], v3, off
.LBB33_194:                             ;   in Loop: Header=BB33_69 Depth=1
	s_or_b32 exec_lo, exec_lo, s2
	v_or_b32_e32 v1, 10, v27
	s_mov_b32 s2, exec_lo
	s_delay_alu instid0(VALU_DEP_1)
	v_cmpx_gt_i32_e64 s39, v1
	;; [unrolled: 22-line block ×7, first 2 shown]
	s_cbranch_execz .LBB33_206
; %bb.205:                              ;   in Loop: Header=BB33_69 Depth=1
	v_ashrrev_i32_e32 v2, 31, v27
	v_add_co_u32 v1, vcc_lo, v27, s40
	v_readlane_b32 s3, v85, 10
	s_delay_alu instid0(VALU_DEP_3) | instskip(NEXT) | instid1(VALU_DEP_1)
	v_add_co_ci_u32_e32 v2, vcc_lo, s54, v2, vcc_lo
	v_lshlrev_b64 v[1:2], 1, v[1:2]
	s_delay_alu instid0(VALU_DEP_1) | instskip(SKIP_1) | instid1(VALU_DEP_1)
	v_add_co_u32 v1, vcc_lo, s3, v1
	v_readlane_b32 s3, v85, 11
	v_add_co_ci_u32_e32 v2, vcc_lo, s3, v2, vcc_lo
	global_load_u16 v3, v[1:2], off
	s_waitcnt vmcnt(0)
	v_add_f16_e32 v3, v3, v47
	global_store_b16 v[1:2], v3, off
.LBB33_206:                             ;   in Loop: Header=BB33_69 Depth=1
	s_or_b32 exec_lo, exec_lo, s2
                                        ; implicit-def: $vgpr55
                                        ; implicit-def: $vgpr54
                                        ; implicit-def: $vgpr53
                                        ; implicit-def: $vgpr52
                                        ; implicit-def: $vgpr51
                                        ; implicit-def: $vgpr50
                                        ; implicit-def: $vgpr49
                                        ; implicit-def: $vgpr47
                                        ; implicit-def: $vgpr48
.LBB33_207:                             ;   in Loop: Header=BB33_69 Depth=1
	s_and_not1_saveexec_b32 s1, s1
	s_cbranch_execz .LBB33_209
; %bb.208:                              ;   in Loop: Header=BB33_69 Depth=1
	v_add_nc_u32_e32 v1, s40, v48
	v_perm_b32 v4, v47, v49, 0x5040100
	v_perm_b32 v3, v50, v51, 0x5040100
	s_delay_alu instid0(VALU_DEP_3) | instskip(NEXT) | instid1(VALU_DEP_1)
	v_ashrrev_i32_e32 v2, 31, v1
	v_lshrrev_b32_e32 v2, 29, v2
	s_delay_alu instid0(VALU_DEP_1) | instskip(NEXT) | instid1(VALU_DEP_1)
	v_add_nc_u32_e32 v1, v1, v2
	v_ashrrev_i32_e32 v1, 3, v1
	s_delay_alu instid0(VALU_DEP_1) | instskip(NEXT) | instid1(VALU_DEP_1)
	v_ashrrev_i32_e32 v2, 31, v1
	v_lshlrev_b64 v[1:2], 4, v[1:2]
	s_delay_alu instid0(VALU_DEP_1) | instskip(NEXT) | instid1(VALU_DEP_2)
	v_add_co_u32 v5, vcc_lo, s50, v1
	v_add_co_ci_u32_e32 v6, vcc_lo, s51, v2, vcc_lo
	v_perm_b32 v2, v52, v53, 0x5040100
	global_load_u16 v1, v[5:6], off offset:14
	s_waitcnt vmcnt(0)
	v_add_f16_e32 v1, v55, v1
	s_delay_alu instid0(VALU_DEP_1)
	v_perm_b32 v1, v54, v1, 0x5040100
	global_store_b128 v[5:6], v[1:4], off
.LBB33_209:                             ;   in Loop: Header=BB33_69 Depth=1
	s_or_b32 exec_lo, exec_lo, s1
	v_cmp_gt_i32_e32 vcc_lo, s39, v30
	v_cmp_le_i32_e64 s1, s39, v30
	s_delay_alu instid0(VALU_DEP_1) | instskip(NEXT) | instid1(SALU_CYCLE_1)
	s_and_saveexec_b32 s2, s1
	s_xor_b32 s1, exec_lo, s2
	s_cbranch_execz .LBB33_227
; %bb.210:                              ;   in Loop: Header=BB33_69 Depth=1
	s_and_saveexec_b32 s2, s0
	s_cbranch_execz .LBB33_212
; %bb.211:                              ;   in Loop: Header=BB33_69 Depth=1
	v_ashrrev_i32_e32 v2, 31, v27
	v_add_co_u32 v1, s0, v27, s40
	v_readlane_b32 s3, v85, 13
	s_delay_alu instid0(VALU_DEP_3) | instskip(SKIP_1) | instid1(VALU_DEP_2)
	v_add_co_ci_u32_e64 v2, s0, s54, v2, s0
	v_readlane_b32 s0, v85, 12
	v_lshlrev_b64 v[1:2], 1, v[1:2]
	s_delay_alu instid0(VALU_DEP_1) | instskip(NEXT) | instid1(VALU_DEP_1)
	v_add_co_u32 v1, s0, s0, v1
	v_add_co_ci_u32_e64 v2, s0, s3, v2, s0
	global_load_u16 v3, v[1:2], off
	s_waitcnt vmcnt(0)
	v_add_f16_e32 v3, v3, v46
	global_store_b16 v[1:2], v3, off
.LBB33_212:                             ;   in Loop: Header=BB33_69 Depth=1
	s_or_b32 exec_lo, exec_lo, s2
	v_or_b32_e32 v1, 17, v27
	s_mov_b32 s2, exec_lo
	s_delay_alu instid0(VALU_DEP_1)
	v_cmpx_gt_i32_e64 s39, v1
	s_cbranch_execz .LBB33_214
; %bb.213:                              ;   in Loop: Header=BB33_69 Depth=1
	v_ashrrev_i32_e32 v2, 31, v27
	v_add_co_u32 v1, s0, v27, s40
	v_readlane_b32 s3, v85, 15
	s_delay_alu instid0(VALU_DEP_3) | instskip(SKIP_1) | instid1(VALU_DEP_2)
	v_add_co_ci_u32_e64 v2, s0, s54, v2, s0
	v_readlane_b32 s0, v85, 14
	v_lshlrev_b64 v[1:2], 1, v[1:2]
	s_delay_alu instid0(VALU_DEP_1) | instskip(NEXT) | instid1(VALU_DEP_1)
	v_add_co_u32 v1, s0, s0, v1
	v_add_co_ci_u32_e64 v2, s0, s3, v2, s0
	global_load_u16 v3, v[1:2], off
	s_waitcnt vmcnt(0)
	v_add_f16_e32 v3, v3, v45
	global_store_b16 v[1:2], v3, off
.LBB33_214:                             ;   in Loop: Header=BB33_69 Depth=1
	s_or_b32 exec_lo, exec_lo, s2
	v_or_b32_e32 v1, 18, v27
	s_mov_b32 s2, exec_lo
	s_delay_alu instid0(VALU_DEP_1)
	v_cmpx_gt_i32_e64 s39, v1
	;; [unrolled: 22-line block ×7, first 2 shown]
	s_cbranch_execz .LBB33_226
; %bb.225:                              ;   in Loop: Header=BB33_69 Depth=1
	v_ashrrev_i32_e32 v2, 31, v27
	v_add_co_u32 v1, s0, v27, s40
	v_readlane_b32 s3, v85, 27
	s_delay_alu instid0(VALU_DEP_3) | instskip(SKIP_1) | instid1(VALU_DEP_2)
	v_add_co_ci_u32_e64 v2, s0, s54, v2, s0
	v_readlane_b32 s0, v85, 26
	v_lshlrev_b64 v[1:2], 1, v[1:2]
	s_delay_alu instid0(VALU_DEP_1) | instskip(NEXT) | instid1(VALU_DEP_1)
	v_add_co_u32 v1, s0, s0, v1
	v_add_co_ci_u32_e64 v2, s0, s3, v2, s0
	global_load_u16 v3, v[1:2], off
	s_waitcnt vmcnt(0)
	v_add_f16_e32 v3, v3, v38
	global_store_b16 v[1:2], v3, off
.LBB33_226:                             ;   in Loop: Header=BB33_69 Depth=1
	s_or_b32 exec_lo, exec_lo, s2
                                        ; implicit-def: $vgpr46
                                        ; implicit-def: $vgpr45
                                        ; implicit-def: $vgpr44
                                        ; implicit-def: $vgpr43
                                        ; implicit-def: $vgpr42
                                        ; implicit-def: $vgpr41
                                        ; implicit-def: $vgpr39
                                        ; implicit-def: $vgpr38
                                        ; implicit-def: $vgpr40
.LBB33_227:                             ;   in Loop: Header=BB33_69 Depth=1
	s_and_not1_saveexec_b32 s1, s1
	s_cbranch_execz .LBB33_229
; %bb.228:                              ;   in Loop: Header=BB33_69 Depth=1
	v_add_nc_u32_e32 v1, s40, v40
	v_perm_b32 v4, v38, v39, 0x5040100
	v_perm_b32 v3, v41, v42, 0x5040100
	s_delay_alu instid0(VALU_DEP_3) | instskip(NEXT) | instid1(VALU_DEP_1)
	v_ashrrev_i32_e32 v2, 31, v1
	v_lshrrev_b32_e32 v2, 29, v2
	s_delay_alu instid0(VALU_DEP_1) | instskip(NEXT) | instid1(VALU_DEP_1)
	v_add_nc_u32_e32 v1, v1, v2
	v_ashrrev_i32_e32 v1, 3, v1
	s_delay_alu instid0(VALU_DEP_1) | instskip(NEXT) | instid1(VALU_DEP_1)
	v_ashrrev_i32_e32 v2, 31, v1
	v_lshlrev_b64 v[5:6], 4, v[1:2]
	v_perm_b32 v2, v43, v44, 0x5040100
	v_perm_b32 v1, v45, v46, 0x5040100
	s_delay_alu instid0(VALU_DEP_3) | instskip(NEXT) | instid1(VALU_DEP_1)
	v_add_co_u32 v5, s0, s50, v5
	v_add_co_ci_u32_e64 v6, s0, s51, v6, s0
	global_store_b128 v[5:6], v[1:4], off
.LBB33_229:                             ;   in Loop: Header=BB33_69 Depth=1
	s_or_b32 exec_lo, exec_lo, s1
	v_cmp_le_i32_e64 s0, s39, v33
	s_delay_alu instid0(VALU_DEP_1) | instskip(NEXT) | instid1(SALU_CYCLE_1)
	s_and_saveexec_b32 s1, s0
	s_xor_b32 s0, exec_lo, s1
	s_cbranch_execz .LBB33_247
; %bb.230:                              ;   in Loop: Header=BB33_69 Depth=1
	s_and_saveexec_b32 s1, vcc_lo
	s_cbranch_execz .LBB33_232
; %bb.231:                              ;   in Loop: Header=BB33_69 Depth=1
	v_ashrrev_i32_e32 v2, 31, v27
	v_add_co_u32 v1, vcc_lo, v27, s40
	v_readlane_b32 s2, v85, 28
	s_delay_alu instid0(VALU_DEP_3) | instskip(NEXT) | instid1(VALU_DEP_1)
	v_add_co_ci_u32_e32 v2, vcc_lo, s54, v2, vcc_lo
	v_lshlrev_b64 v[1:2], 1, v[1:2]
	s_delay_alu instid0(VALU_DEP_1) | instskip(SKIP_1) | instid1(VALU_DEP_1)
	v_add_co_u32 v1, vcc_lo, s2, v1
	v_readlane_b32 s2, v85, 29
	v_add_co_ci_u32_e32 v2, vcc_lo, s2, v2, vcc_lo
	global_load_u16 v3, v[1:2], off
	s_waitcnt vmcnt(0)
	v_add_f16_e32 v3, v3, v37
	global_store_b16 v[1:2], v3, off
.LBB33_232:                             ;   in Loop: Header=BB33_69 Depth=1
	s_or_b32 exec_lo, exec_lo, s1
	v_or_b32_e32 v1, 25, v27
	s_mov_b32 s1, exec_lo
	s_delay_alu instid0(VALU_DEP_1)
	v_cmpx_gt_i32_e64 s39, v1
	s_cbranch_execz .LBB33_234
; %bb.233:                              ;   in Loop: Header=BB33_69 Depth=1
	v_ashrrev_i32_e32 v2, 31, v27
	v_add_co_u32 v1, vcc_lo, v27, s40
	v_readlane_b32 s2, v85, 30
	s_delay_alu instid0(VALU_DEP_3) | instskip(NEXT) | instid1(VALU_DEP_1)
	v_add_co_ci_u32_e32 v2, vcc_lo, s54, v2, vcc_lo
	v_lshlrev_b64 v[1:2], 1, v[1:2]
	s_delay_alu instid0(VALU_DEP_1) | instskip(SKIP_1) | instid1(VALU_DEP_1)
	v_add_co_u32 v1, vcc_lo, s2, v1
	v_readlane_b32 s2, v85, 31
	v_add_co_ci_u32_e32 v2, vcc_lo, s2, v2, vcc_lo
	global_load_u16 v3, v[1:2], off
	s_waitcnt vmcnt(0)
	v_add_f16_e32 v3, v3, v36
	global_store_b16 v[1:2], v3, off
.LBB33_234:                             ;   in Loop: Header=BB33_69 Depth=1
	s_or_b32 exec_lo, exec_lo, s1
	v_or_b32_e32 v1, 26, v27
	s_mov_b32 s1, exec_lo
	s_delay_alu instid0(VALU_DEP_1)
	v_cmpx_gt_i32_e64 s39, v1
	;; [unrolled: 22-line block ×3, first 2 shown]
	s_cbranch_execz .LBB33_238
; %bb.237:                              ;   in Loop: Header=BB33_69 Depth=1
	v_ashrrev_i32_e32 v2, 31, v27
	v_add_co_u32 v1, vcc_lo, v27, s40
	s_delay_alu instid0(VALU_DEP_2) | instskip(NEXT) | instid1(VALU_DEP_1)
	v_add_co_ci_u32_e32 v2, vcc_lo, s54, v2, vcc_lo
	v_lshlrev_b64 v[1:2], 1, v[1:2]
	s_delay_alu instid0(VALU_DEP_1) | instskip(NEXT) | instid1(VALU_DEP_2)
	v_add_co_u32 v1, vcc_lo, vcc_hi, v1
	v_add_co_ci_u32_e32 v2, vcc_lo, s45, v2, vcc_lo
	global_load_u16 v3, v[1:2], off
	s_waitcnt vmcnt(0)
	v_add_f16_e32 v3, v3, v34
	global_store_b16 v[1:2], v3, off
.LBB33_238:                             ;   in Loop: Header=BB33_69 Depth=1
	s_or_b32 exec_lo, exec_lo, s1
	v_or_b32_e32 v1, 28, v27
	s_mov_b32 s1, exec_lo
	s_delay_alu instid0(VALU_DEP_1)
	v_cmpx_gt_i32_e64 s39, v1
	s_cbranch_execz .LBB33_240
; %bb.239:                              ;   in Loop: Header=BB33_69 Depth=1
	v_ashrrev_i32_e32 v2, 31, v27
	v_add_co_u32 v1, vcc_lo, v27, s40
	s_delay_alu instid0(VALU_DEP_2) | instskip(NEXT) | instid1(VALU_DEP_1)
	v_add_co_ci_u32_e32 v2, vcc_lo, s54, v2, vcc_lo
	v_lshlrev_b64 v[1:2], 1, v[1:2]
	s_delay_alu instid0(VALU_DEP_1) | instskip(NEXT) | instid1(VALU_DEP_2)
	v_add_co_u32 v1, vcc_lo, s46, v1
	v_add_co_ci_u32_e32 v2, vcc_lo, s47, v2, vcc_lo
	global_load_u16 v3, v[1:2], off
	s_waitcnt vmcnt(0)
	v_add_f16_e32 v3, v3, v32
	global_store_b16 v[1:2], v3, off
.LBB33_240:                             ;   in Loop: Header=BB33_69 Depth=1
	s_or_b32 exec_lo, exec_lo, s1
	v_or_b32_e32 v1, 29, v27
	s_mov_b32 s1, exec_lo
	s_delay_alu instid0(VALU_DEP_1)
	v_cmpx_gt_i32_e64 s39, v1
	s_cbranch_execz .LBB33_242
; %bb.241:                              ;   in Loop: Header=BB33_69 Depth=1
	v_ashrrev_i32_e32 v2, 31, v27
	v_add_co_u32 v1, vcc_lo, v27, s40
	s_delay_alu instid0(VALU_DEP_2) | instskip(NEXT) | instid1(VALU_DEP_1)
	v_add_co_ci_u32_e32 v2, vcc_lo, s54, v2, vcc_lo
	v_lshlrev_b64 v[1:2], 1, v[1:2]
	s_delay_alu instid0(VALU_DEP_1) | instskip(NEXT) | instid1(VALU_DEP_2)
	v_add_co_u32 v1, vcc_lo, s52, v1
	v_add_co_ci_u32_e32 v2, vcc_lo, s53, v2, vcc_lo
	global_load_u16 v3, v[1:2], off
	s_waitcnt vmcnt(0)
	v_add_f16_e32 v3, v3, v31
	global_store_b16 v[1:2], v3, off
.LBB33_242:                             ;   in Loop: Header=BB33_69 Depth=1
	;; [unrolled: 20-line block ×4, first 2 shown]
	s_or_b32 exec_lo, exec_lo, s1
                                        ; implicit-def: $vgpr37
                                        ; implicit-def: $vgpr36
                                        ; implicit-def: $vgpr35
                                        ; implicit-def: $vgpr34
                                        ; implicit-def: $vgpr32
                                        ; implicit-def: $vgpr31
                                        ; implicit-def: $vgpr29
                                        ; implicit-def: $vgpr28
                                        ; implicit-def: $vgpr30
.LBB33_247:                             ;   in Loop: Header=BB33_69 Depth=1
	s_and_not1_saveexec_b32 s0, s0
	s_cbranch_execz .LBB33_68
; %bb.248:                              ;   in Loop: Header=BB33_69 Depth=1
	v_add_nc_u32_e32 v1, s40, v30
	v_perm_b32 v4, v28, v29, 0x5040100
	v_perm_b32 v3, v31, v32, 0x5040100
	s_delay_alu instid0(VALU_DEP_3) | instskip(NEXT) | instid1(VALU_DEP_1)
	v_ashrrev_i32_e32 v2, 31, v1
	v_lshrrev_b32_e32 v2, 29, v2
	s_delay_alu instid0(VALU_DEP_1) | instskip(NEXT) | instid1(VALU_DEP_1)
	v_add_nc_u32_e32 v1, v1, v2
	v_ashrrev_i32_e32 v1, 3, v1
	s_delay_alu instid0(VALU_DEP_1) | instskip(NEXT) | instid1(VALU_DEP_1)
	v_ashrrev_i32_e32 v2, 31, v1
	v_lshlrev_b64 v[5:6], 4, v[1:2]
	v_perm_b32 v2, v34, v35, 0x5040100
	v_perm_b32 v1, v36, v37, 0x5040100
	s_delay_alu instid0(VALU_DEP_3) | instskip(NEXT) | instid1(VALU_DEP_4)
	v_add_co_u32 v5, vcc_lo, s50, v5
	v_add_co_ci_u32_e32 v6, vcc_lo, s51, v6, vcc_lo
	global_store_b128 v[5:6], v[1:4], off
	s_branch .LBB33_68
.LBB33_249:
	s_endpgm
	.section	.rodata,"a",@progbits
	.p2align	6, 0x0
	.amdhsa_kernel _Z27kspmm_coo_very_sparse_naiveI6__halfLi32ELi16EEvPiS1_S1_S1_S1_PS0_PT_S2_Pfiiii
		.amdhsa_group_segment_fixed_size 4096
		.amdhsa_private_segment_fixed_size 208
		.amdhsa_kernarg_size 344
		.amdhsa_user_sgpr_count 15
		.amdhsa_user_sgpr_dispatch_ptr 0
		.amdhsa_user_sgpr_queue_ptr 0
		.amdhsa_user_sgpr_kernarg_segment_ptr 1
		.amdhsa_user_sgpr_dispatch_id 0
		.amdhsa_user_sgpr_private_segment_size 0
		.amdhsa_wavefront_size32 1
		.amdhsa_uses_dynamic_stack 0
		.amdhsa_enable_private_segment 1
		.amdhsa_system_sgpr_workgroup_id_x 1
		.amdhsa_system_sgpr_workgroup_id_y 0
		.amdhsa_system_sgpr_workgroup_id_z 0
		.amdhsa_system_sgpr_workgroup_info 0
		.amdhsa_system_vgpr_workitem_id 0
		.amdhsa_next_free_vgpr 87
		.amdhsa_next_free_sgpr 105
		.amdhsa_reserve_vcc 1
		.amdhsa_float_round_mode_32 0
		.amdhsa_float_round_mode_16_64 0
		.amdhsa_float_denorm_mode_32 3
		.amdhsa_float_denorm_mode_16_64 3
		.amdhsa_dx10_clamp 1
		.amdhsa_ieee_mode 1
		.amdhsa_fp16_overflow 0
		.amdhsa_workgroup_processor_mode 1
		.amdhsa_memory_ordered 1
		.amdhsa_forward_progress 0
		.amdhsa_shared_vgpr_count 0
		.amdhsa_exception_fp_ieee_invalid_op 0
		.amdhsa_exception_fp_denorm_src 0
		.amdhsa_exception_fp_ieee_div_zero 0
		.amdhsa_exception_fp_ieee_overflow 0
		.amdhsa_exception_fp_ieee_underflow 0
		.amdhsa_exception_fp_ieee_inexact 0
		.amdhsa_exception_int_div_zero 0
	.end_amdhsa_kernel
	.section	.text._Z27kspmm_coo_very_sparse_naiveI6__halfLi32ELi16EEvPiS1_S1_S1_S1_PS0_PT_S2_Pfiiii,"axG",@progbits,_Z27kspmm_coo_very_sparse_naiveI6__halfLi32ELi16EEvPiS1_S1_S1_S1_PS0_PT_S2_Pfiiii,comdat
.Lfunc_end33:
	.size	_Z27kspmm_coo_very_sparse_naiveI6__halfLi32ELi16EEvPiS1_S1_S1_S1_PS0_PT_S2_Pfiiii, .Lfunc_end33-_Z27kspmm_coo_very_sparse_naiveI6__halfLi32ELi16EEvPiS1_S1_S1_S1_PS0_PT_S2_Pfiiii
                                        ; -- End function
	.section	.AMDGPU.csdata,"",@progbits
; Kernel info:
; codeLenInByte = 12008
; NumSgprs: 107
; NumVgprs: 87
; ScratchSize: 208
; MemoryBound: 0
; FloatMode: 240
; IeeeMode: 1
; LDSByteSize: 4096 bytes/workgroup (compile time only)
; SGPRBlocks: 13
; VGPRBlocks: 10
; NumSGPRsForWavesPerEU: 107
; NumVGPRsForWavesPerEU: 87
; Occupancy: 16
; WaveLimiterHint : 1
; COMPUTE_PGM_RSRC2:SCRATCH_EN: 1
; COMPUTE_PGM_RSRC2:USER_SGPR: 15
; COMPUTE_PGM_RSRC2:TRAP_HANDLER: 0
; COMPUTE_PGM_RSRC2:TGID_X_EN: 1
; COMPUTE_PGM_RSRC2:TGID_Y_EN: 0
; COMPUTE_PGM_RSRC2:TGID_Z_EN: 0
; COMPUTE_PGM_RSRC2:TIDIG_COMP_CNT: 0
	.section	.text._Z27kspmm_coo_very_sparse_naiveIaLi8ELi8EEvPiS0_S0_S0_S0_P6__halfPT_S2_Pfiiii,"axG",@progbits,_Z27kspmm_coo_very_sparse_naiveIaLi8ELi8EEvPiS0_S0_S0_S0_P6__halfPT_S2_Pfiiii,comdat
